;; amdgpu-corpus repo=ROCm/rocFFT kind=compiled arch=gfx906 opt=O3
	.text
	.amdgcn_target "amdgcn-amd-amdhsa--gfx906"
	.amdhsa_code_object_version 6
	.protected	bluestein_single_fwd_len350_dim1_dp_op_CI_CI ; -- Begin function bluestein_single_fwd_len350_dim1_dp_op_CI_CI
	.globl	bluestein_single_fwd_len350_dim1_dp_op_CI_CI
	.p2align	8
	.type	bluestein_single_fwd_len350_dim1_dp_op_CI_CI,@function
bluestein_single_fwd_len350_dim1_dp_op_CI_CI: ; @bluestein_single_fwd_len350_dim1_dp_op_CI_CI
; %bb.0:
	s_load_dwordx4 s[8:11], s[4:5], 0x28
	v_mul_u32_u24_e32 v1, 0x51f, v0
	v_add_u32_sdwa v122, s6, v1 dst_sel:DWORD dst_unused:UNUSED_PAD src0_sel:DWORD src1_sel:WORD_1
	v_mov_b32_e32 v123, 0
	s_waitcnt lgkmcnt(0)
	v_cmp_gt_u64_e32 vcc, s[8:9], v[122:123]
	s_and_saveexec_b64 s[0:1], vcc
	s_cbranch_execz .LBB0_23
; %bb.1:
	s_load_dwordx4 s[0:3], s[4:5], 0x18
	v_mov_b32_e32 v2, 50
	v_mul_lo_u16_sdwa v1, v1, v2 dst_sel:DWORD dst_unused:UNUSED_PAD src0_sel:WORD_1 src1_sel:DWORD
	v_sub_u16_e32 v144, v0, v1
	v_lshlrev_b32_e32 v143, 4, v144
	s_waitcnt lgkmcnt(0)
	s_load_dwordx4 s[12:15], s[0:1], 0x0
	s_waitcnt lgkmcnt(0)
	v_mad_u64_u32 v[0:1], s[0:1], s14, v122, 0
	v_mad_u64_u32 v[2:3], s[0:1], s12, v144, 0
	;; [unrolled: 1-line block ×3, first 2 shown]
	s_load_dwordx2 s[14:15], s[4:5], 0x0
	v_mad_u64_u32 v[5:6], s[0:1], s13, v144, v[3:4]
	v_mov_b32_e32 v1, v4
	v_lshlrev_b64 v[0:1], 4, v[0:1]
	v_mov_b32_e32 v6, s11
	v_mov_b32_e32 v3, v5
	v_add_co_u32_e32 v4, vcc, s10, v0
	v_addc_co_u32_e32 v5, vcc, v6, v1, vcc
	v_lshlrev_b64 v[0:1], 4, v[2:3]
	s_waitcnt lgkmcnt(0)
	v_mov_b32_e32 v2, s15
	v_add_co_u32_e32 v0, vcc, v4, v0
	v_addc_co_u32_e32 v1, vcc, v5, v1, vcc
	v_add_co_u32_e32 v120, vcc, s14, v143
	v_addc_co_u32_e64 v121, s[0:1], 0, v2, vcc
	s_mul_i32 s0, s13, 0x46
	s_mul_hi_u32 s1, s12, 0x46
	s_add_i32 s1, s1, s0
	s_mul_i32 s0, s12, 0x46
	s_lshl_b64 s[16:17], s[0:1], 4
	v_mov_b32_e32 v20, s17
	v_add_co_u32_e64 v2, s[0:1], s16, v0
	v_addc_co_u32_e64 v3, s[0:1], v1, v20, s[0:1]
	v_add_co_u32_e64 v8, s[0:1], s16, v2
	v_addc_co_u32_e64 v9, s[0:1], v3, v20, s[0:1]
	;; [unrolled: 2-line block ×4, first 2 shown]
	global_load_dwordx4 v[24:27], v[0:1], off
	global_load_dwordx4 v[28:31], v[2:3], off
	global_load_dwordx4 v[16:19], v143, s[14:15]
	global_load_dwordx4 v[12:15], v143, s[14:15] offset:1120
	s_movk_i32 s0, 0x1000
	v_add_co_u32_e64 v20, s[0:1], s0, v120
	global_load_dwordx4 v[32:35], v[8:9], off
	global_load_dwordx4 v[36:39], v[10:11], off
	global_load_dwordx4 v[4:7], v143, s[14:15] offset:2240
	global_load_dwordx4 v[0:3], v143, s[14:15] offset:3360
	v_addc_co_u32_e64 v21, s[0:1], 0, v121, s[0:1]
	global_load_dwordx4 v[8:11], v[20:21], off offset:384
	global_load_dwordx4 v[40:43], v[22:23], off
	s_load_dwordx2 s[6:7], s[4:5], 0x38
	s_load_dwordx4 s[8:11], s[2:3], 0x0
	v_cmp_gt_u16_e64 s[0:1], 20, v144
	s_waitcnt vmcnt(7)
	v_mul_f64 v[44:45], v[26:27], v[18:19]
	v_mul_f64 v[46:47], v[24:25], v[18:19]
	s_waitcnt vmcnt(6)
	v_mul_f64 v[48:49], v[30:31], v[14:15]
	v_mul_f64 v[50:51], v[28:29], v[14:15]
	;; [unrolled: 3-line block ×5, first 2 shown]
	v_fma_f64 v[24:25], v[24:25], v[16:17], v[44:45]
	v_fma_f64 v[26:27], v[26:27], v[16:17], -v[46:47]
	v_fma_f64 v[28:29], v[28:29], v[12:13], v[48:49]
	v_fma_f64 v[30:31], v[30:31], v[12:13], -v[50:51]
	;; [unrolled: 2-line block ×5, first 2 shown]
	ds_write_b128 v143, v[24:27]
	ds_write_b128 v143, v[28:31] offset:1120
	ds_write_b128 v143, v[32:35] offset:2240
	ds_write_b128 v143, v[36:39] offset:3360
	ds_write_b128 v143, v[40:43] offset:4480
	s_and_saveexec_b64 s[18:19], s[0:1]
	s_cbranch_execz .LBB0_3
; %bb.2:
	v_mov_b32_e32 v24, 0xfffff1a0
	v_mad_u64_u32 v[26:27], s[2:3], s12, v24, v[22:23]
	s_mul_i32 s2, s13, 0xfffff1a0
	s_sub_i32 s2, s2, s12
	v_add_u32_e32 v27, s2, v27
	v_mov_b32_e32 v56, s17
	v_add_co_u32_e64 v38, s[2:3], s16, v26
	v_addc_co_u32_e64 v39, s[2:3], v27, v56, s[2:3]
	v_add_co_u32_e64 v42, s[2:3], s16, v38
	global_load_dwordx4 v[22:25], v[26:27], off
	v_addc_co_u32_e64 v43, s[2:3], v39, v56, s[2:3]
	global_load_dwordx4 v[26:29], v[38:39], off
	global_load_dwordx4 v[30:33], v[120:121], off offset:800
	global_load_dwordx4 v[34:37], v[120:121], off offset:1920
	v_add_co_u32_e64 v54, s[2:3], s16, v42
	global_load_dwordx4 v[38:41], v[42:43], off
	v_addc_co_u32_e64 v55, s[2:3], v43, v56, s[2:3]
	global_load_dwordx4 v[42:45], v[54:55], off
	global_load_dwordx4 v[46:49], v[120:121], off offset:3040
	global_load_dwordx4 v[50:53], v[20:21], off offset:64
	v_add_co_u32_e64 v62, s[2:3], s16, v54
	v_addc_co_u32_e64 v63, s[2:3], v55, v56, s[2:3]
	global_load_dwordx4 v[54:57], v[20:21], off offset:1184
	global_load_dwordx4 v[58:61], v[62:63], off
	s_waitcnt vmcnt(7)
	v_mul_f64 v[20:21], v[24:25], v[32:33]
	v_mul_f64 v[32:33], v[22:23], v[32:33]
	s_waitcnt vmcnt(6)
	v_mul_f64 v[62:63], v[28:29], v[36:37]
	v_mul_f64 v[36:37], v[26:27], v[36:37]
	;; [unrolled: 3-line block ×4, first 2 shown]
	v_fma_f64 v[20:21], v[22:23], v[30:31], v[20:21]
	v_fma_f64 v[22:23], v[24:25], v[30:31], -v[32:33]
	s_waitcnt vmcnt(0)
	v_mul_f64 v[68:69], v[60:61], v[56:57]
	v_mul_f64 v[56:57], v[58:59], v[56:57]
	v_fma_f64 v[24:25], v[26:27], v[34:35], v[62:63]
	v_fma_f64 v[26:27], v[28:29], v[34:35], -v[36:37]
	v_fma_f64 v[28:29], v[38:39], v[46:47], v[64:65]
	v_fma_f64 v[30:31], v[40:41], v[46:47], -v[48:49]
	v_fma_f64 v[32:33], v[42:43], v[50:51], v[66:67]
	v_fma_f64 v[34:35], v[44:45], v[50:51], -v[52:53]
	v_fma_f64 v[36:37], v[58:59], v[54:55], v[68:69]
	v_fma_f64 v[38:39], v[60:61], v[54:55], -v[56:57]
	ds_write_b128 v143, v[20:23] offset:800
	ds_write_b128 v143, v[24:27] offset:1920
	;; [unrolled: 1-line block ×5, first 2 shown]
.LBB0_3:
	s_or_b64 exec, exec, s[18:19]
	s_waitcnt lgkmcnt(0)
	; wave barrier
	s_waitcnt lgkmcnt(0)
	ds_read_b128 v[56:59], v143
	ds_read_b128 v[40:43], v143 offset:1120
	ds_read_b128 v[44:47], v143 offset:2240
	ds_read_b128 v[48:51], v143 offset:3360
	ds_read_b128 v[52:55], v143 offset:4480
	s_load_dwordx2 s[4:5], s[4:5], 0x8
                                        ; implicit-def: $vgpr20_vgpr21
                                        ; implicit-def: $vgpr24_vgpr25
                                        ; implicit-def: $vgpr28_vgpr29
                                        ; implicit-def: $vgpr32_vgpr33
                                        ; implicit-def: $vgpr36_vgpr37
	s_and_saveexec_b64 s[2:3], s[0:1]
	s_cbranch_execz .LBB0_5
; %bb.4:
	ds_read_b128 v[20:23], v143 offset:800
	ds_read_b128 v[24:27], v143 offset:1920
	;; [unrolled: 1-line block ×5, first 2 shown]
.LBB0_5:
	s_or_b64 exec, exec, s[2:3]
	s_waitcnt lgkmcnt(0)
	v_add_f64 v[60:61], v[44:45], v[48:49]
	v_add_f64 v[62:63], v[56:57], v[40:41]
	v_add_f64 v[66:67], v[42:43], -v[54:55]
	v_add_co_u32_e64 v102, s[2:3], 50, v144
	s_mov_b32 s2, 0x134454ff
	s_mov_b32 s3, 0x3fee6f0e
	v_add_f64 v[64:65], v[46:47], -v[50:51]
	v_fma_f64 v[60:61], v[60:61], -0.5, v[56:57]
	v_add_f64 v[68:69], v[40:41], -v[44:45]
	v_add_f64 v[70:71], v[52:53], -v[48:49]
	v_add_f64 v[62:63], v[62:63], v[44:45]
	s_mov_b32 s12, 0x4755a5e
	s_mov_b32 s13, 0x3fe2cf23
	;; [unrolled: 1-line block ×4, first 2 shown]
	v_fma_f64 v[72:73], v[66:67], s[2:3], v[60:61]
	v_add_f64 v[74:75], v[40:41], v[52:53]
	v_add_f64 v[76:77], v[58:59], v[42:43]
	;; [unrolled: 1-line block ×5, first 2 shown]
	s_mov_b32 s21, 0xbfe2cf23
	s_mov_b32 s20, s12
	v_fma_f64 v[70:71], v[64:65], s[12:13], v[72:73]
	v_fma_f64 v[72:73], v[66:67], s[18:19], v[60:61]
	v_fma_f64 v[74:75], v[74:75], -0.5, v[56:57]
	v_add_f64 v[80:81], v[40:41], -v[52:53]
	v_fma_f64 v[78:79], v[78:79], -0.5, v[58:59]
	v_add_f64 v[56:57], v[62:63], v[52:53]
	v_add_f64 v[84:85], v[42:43], v[54:55]
	s_mov_b32 s16, 0x372fe950
	s_mov_b32 s17, 0x3fd3c6ef
	v_fma_f64 v[62:63], v[64:65], s[20:21], v[72:73]
	v_add_f64 v[72:73], v[76:77], v[46:47]
	v_fma_f64 v[60:61], v[68:69], s[16:17], v[70:71]
	v_fma_f64 v[70:71], v[64:65], s[18:19], v[74:75]
	v_fma_f64 v[76:77], v[80:81], s[18:19], v[78:79]
	v_add_f64 v[82:83], v[44:45], -v[48:49]
	v_add_f64 v[86:87], v[42:43], -v[46:47]
	;; [unrolled: 1-line block ×4, first 2 shown]
	v_fma_f64 v[44:45], v[64:65], s[2:3], v[74:75]
	v_add_f64 v[48:49], v[48:49], -v[52:53]
	v_add_f64 v[52:53], v[72:73], v[50:51]
	v_fma_f64 v[72:73], v[80:81], s[2:3], v[78:79]
	v_fma_f64 v[74:75], v[84:85], -0.5, v[58:59]
	v_fma_f64 v[76:77], v[82:83], s[20:21], v[76:77]
	v_add_f64 v[78:79], v[86:87], v[88:89]
	v_fma_f64 v[64:65], v[68:69], s[16:17], v[62:63]
	v_fma_f64 v[68:69], v[66:67], s[12:13], v[70:71]
	v_add_f64 v[70:71], v[40:41], v[48:49]
	v_add_f64 v[58:59], v[52:53], v[54:55]
	v_fma_f64 v[40:41], v[82:83], s[12:13], v[72:73]
	v_add_f64 v[42:43], v[46:47], -v[42:43]
	v_add_f64 v[46:47], v[50:51], -v[54:55]
	v_fma_f64 v[48:49], v[82:83], s[18:19], v[74:75]
	v_add_f64 v[52:53], v[24:25], -v[28:29]
	v_add_f64 v[54:55], v[36:37], -v[32:33]
	v_add_f64 v[72:73], v[24:25], v[36:37]
	v_fma_f64 v[84:85], v[66:67], s[20:21], v[44:45]
	v_fma_f64 v[44:45], v[82:83], s[2:3], v[74:75]
	;; [unrolled: 1-line block ×3, first 2 shown]
	v_add_f64 v[50:51], v[28:29], v[32:33]
	v_fma_f64 v[66:67], v[78:79], s[16:17], v[40:41]
	v_add_f64 v[76:77], v[42:43], v[46:47]
	v_fma_f64 v[78:79], v[80:81], s[12:13], v[48:49]
	v_add_f64 v[48:49], v[30:31], v[34:35]
	v_add_f64 v[42:43], v[52:53], v[54:55]
	v_fma_f64 v[52:53], v[72:73], -0.5, v[20:21]
	v_add_f64 v[72:73], v[26:27], v[38:39]
	v_fma_f64 v[74:75], v[80:81], s[20:21], v[44:45]
	v_fma_f64 v[40:41], v[50:51], -0.5, v[20:21]
	v_add_f64 v[44:45], v[26:27], -v[38:39]
	v_add_f64 v[46:47], v[30:31], -v[34:35]
	;; [unrolled: 1-line block ×4, first 2 shown]
	v_fma_f64 v[48:49], v[48:49], -0.5, v[22:23]
	v_add_f64 v[54:55], v[24:25], -v[36:37]
	v_add_f64 v[50:51], v[28:29], -v[32:33]
	v_add_f64 v[86:87], v[26:27], -v[30:31]
	v_add_f64 v[88:89], v[38:39], -v[34:35]
	v_fma_f64 v[72:73], v[72:73], -0.5, v[22:23]
	v_add_f64 v[90:91], v[30:31], -v[26:27]
	v_add_f64 v[92:93], v[34:35], -v[38:39]
	v_fma_f64 v[94:95], v[44:45], s[18:19], v[40:41]
	v_fma_f64 v[96:97], v[46:47], s[18:19], v[52:53]
	v_add_f64 v[82:83], v[80:81], v[82:83]
	v_fma_f64 v[80:81], v[46:47], s[2:3], v[52:53]
	v_add_f64 v[52:53], v[86:87], v[88:89]
	v_fma_f64 v[86:87], v[54:55], s[2:3], v[48:49]
	v_fma_f64 v[88:89], v[50:51], s[2:3], v[72:73]
	v_add_f64 v[92:93], v[90:91], v[92:93]
	v_fma_f64 v[90:91], v[50:51], s[18:19], v[72:73]
	v_fma_f64 v[72:73], v[70:71], s[16:17], v[84:85]
	;; [unrolled: 1-line block ×17, first 2 shown]
	v_mul_lo_u16_e32 v76, 5, v144
	v_lshlrev_b32_e32 v146, 4, v76
	v_mul_u32_u24_e32 v145, 5, v102
	s_waitcnt lgkmcnt(0)
	; wave barrier
	ds_write_b128 v146, v[56:59]
	ds_write_b128 v146, v[60:63] offset:16
	ds_write_b128 v146, v[68:71] offset:32
	;; [unrolled: 1-line block ×4, first 2 shown]
	s_and_saveexec_b64 s[18:19], s[0:1]
	s_cbranch_execz .LBB0_7
; %bb.6:
	v_add_f64 v[22:23], v[22:23], v[26:27]
	v_add_f64 v[20:21], v[20:21], v[24:25]
	v_mul_f64 v[54:55], v[54:55], s[2:3]
	v_mul_f64 v[24:25], v[44:45], s[2:3]
	;; [unrolled: 1-line block ×4, first 2 shown]
	v_add_f64 v[22:23], v[22:23], v[30:31]
	v_add_f64 v[20:21], v[20:21], v[28:29]
	v_add_f64 v[46:47], v[48:49], -v[54:55]
	v_add_f64 v[24:25], v[40:41], v[24:25]
	v_mul_f64 v[28:29], v[42:43], s[16:17]
	v_mul_f64 v[30:31], v[52:53], s[16:17]
	v_add_f64 v[34:35], v[22:23], v[34:35]
	v_add_f64 v[20:21], v[20:21], v[32:33]
	v_add_f64 v[40:41], v[46:47], -v[44:45]
	v_add_f64 v[32:33], v[26:27], v[24:25]
	v_add_f64 v[26:27], v[34:35], v[38:39]
	;; [unrolled: 1-line block ×5, first 2 shown]
	v_lshlrev_b32_e32 v28, 4, v145
	ds_write_b128 v28, v[80:83] offset:32
	ds_write_b128 v28, v[84:87] offset:48
	ds_write_b128 v28, v[24:27]
	ds_write_b128 v28, v[20:23] offset:16
	ds_write_b128 v28, v[88:91] offset:64
.LBB0_7:
	s_or_b64 exec, exec, s[18:19]
	s_movk_i32 s2, 0xcd
	v_mul_lo_u16_sdwa v20, v144, s2 dst_sel:DWORD dst_unused:UNUSED_PAD src0_sel:BYTE_0 src1_sel:DWORD
	v_lshrrev_b16_e32 v72, 10, v20
	v_mul_lo_u16_e32 v20, 5, v72
	v_sub_u16_e32 v20, v144, v20
	v_and_b32_e32 v108, 0xff, v20
	v_mul_u32_u24_e32 v20, 6, v108
	v_lshlrev_b32_e32 v44, 4, v20
	s_waitcnt lgkmcnt(0)
	; wave barrier
	s_waitcnt lgkmcnt(0)
	global_load_dwordx4 v[32:35], v44, s[4:5]
	global_load_dwordx4 v[28:31], v44, s[4:5] offset:16
	global_load_dwordx4 v[24:27], v44, s[4:5] offset:32
	;; [unrolled: 1-line block ×5, first 2 shown]
	ds_read_b128 v[44:47], v143
	ds_read_b128 v[48:51], v143 offset:800
	ds_read_b128 v[52:55], v143 offset:1600
	;; [unrolled: 1-line block ×6, first 2 shown]
	v_mul_u32_u24_e32 v109, 35, v72
	s_mov_b32 s12, 0x37e14327
	s_mov_b32 s2, 0x36b3c0b5
	;; [unrolled: 1-line block ×16, first 2 shown]
	v_add_lshl_u32 v147, v109, v108, 4
	s_waitcnt lgkmcnt(0)
	; wave barrier
	s_waitcnt vmcnt(5) lgkmcnt(0)
	v_mul_f64 v[72:73], v[50:51], v[34:35]
	v_mul_f64 v[74:75], v[48:49], v[34:35]
	s_waitcnt vmcnt(4)
	v_mul_f64 v[76:77], v[54:55], v[30:31]
	v_mul_f64 v[78:79], v[52:53], v[30:31]
	s_waitcnt vmcnt(1)
	v_mul_f64 v[100:101], v[70:71], v[38:39]
	v_mul_f64 v[102:103], v[68:69], v[38:39]
	s_waitcnt vmcnt(0)
	v_mul_f64 v[104:105], v[66:67], v[42:43]
	v_mul_f64 v[106:107], v[64:65], v[42:43]
	;; [unrolled: 1-line block ×6, first 2 shown]
	v_fma_f64 v[48:49], v[48:49], v[32:33], -v[72:73]
	v_fma_f64 v[50:51], v[50:51], v[32:33], v[74:75]
	v_fma_f64 v[52:53], v[52:53], v[28:29], -v[76:77]
	v_fma_f64 v[54:55], v[54:55], v[28:29], v[78:79]
	;; [unrolled: 2-line block ×6, first 2 shown]
	v_add_f64 v[72:73], v[48:49], v[68:69]
	v_add_f64 v[74:75], v[50:51], v[70:71]
	v_add_f64 v[48:49], v[48:49], -v[68:69]
	v_add_f64 v[50:51], v[50:51], -v[70:71]
	v_add_f64 v[68:69], v[52:53], v[64:65]
	v_add_f64 v[70:71], v[54:55], v[66:67]
	v_add_f64 v[52:53], v[52:53], -v[64:65]
	v_add_f64 v[54:55], v[54:55], -v[66:67]
	;; [unrolled: 4-line block ×4, first 2 shown]
	v_add_f64 v[72:73], v[72:73], -v[64:65]
	v_add_f64 v[74:75], v[74:75], -v[66:67]
	;; [unrolled: 1-line block ×6, first 2 shown]
	v_add_f64 v[92:93], v[56:57], v[52:53]
	v_add_f64 v[94:95], v[58:59], v[54:55]
	v_add_f64 v[52:53], v[52:53], -v[48:49]
	v_add_f64 v[54:55], v[54:55], -v[50:51]
	v_add_f64 v[60:61], v[64:65], v[60:61]
	v_add_f64 v[62:63], v[66:67], v[62:63]
	v_add_f64 v[56:57], v[48:49], -v[56:57]
	v_add_f64 v[58:59], v[50:51], -v[58:59]
	v_mul_f64 v[64:65], v[72:73], s[12:13]
	v_mul_f64 v[66:67], v[74:75], s[12:13]
	;; [unrolled: 1-line block ×6, first 2 shown]
	v_add_f64 v[48:49], v[92:93], v[48:49]
	v_add_f64 v[50:51], v[94:95], v[50:51]
	v_mul_f64 v[100:101], v[52:53], s[16:17]
	v_mul_f64 v[102:103], v[54:55], s[16:17]
	v_add_f64 v[92:93], v[44:45], v[60:61]
	v_add_f64 v[94:95], v[46:47], v[62:63]
	v_fma_f64 v[44:45], v[68:69], s[2:3], v[64:65]
	v_fma_f64 v[46:47], v[70:71], s[2:3], v[66:67]
	v_fma_f64 v[68:69], v[76:77], s[22:23], -v[72:73]
	v_fma_f64 v[70:71], v[78:79], s[22:23], -v[74:75]
	s_mov_b32 s23, 0xbfe77f67
	v_fma_f64 v[72:73], v[56:57], s[24:25], v[96:97]
	v_fma_f64 v[74:75], v[58:59], s[24:25], v[98:99]
	s_mov_b32 s25, 0xbfd5d0dc
	v_fma_f64 v[52:53], v[52:53], s[16:17], -v[96:97]
	v_fma_f64 v[54:55], v[54:55], s[16:17], -v[98:99]
	;; [unrolled: 1-line block ×6, first 2 shown]
	v_fma_f64 v[60:61], v[60:61], s[18:19], v[92:93]
	v_fma_f64 v[62:63], v[62:63], s[18:19], v[94:95]
	;; [unrolled: 1-line block ×8, first 2 shown]
	v_add_f64 v[44:45], v[44:45], v[60:61]
	v_add_f64 v[46:47], v[46:47], v[62:63]
	;; [unrolled: 1-line block ×6, first 2 shown]
	v_cmp_gt_u16_e64 s[2:3], 35, v144
	v_add_f64 v[96:97], v[74:75], v[44:45]
	v_add_f64 v[98:99], v[46:47], -v[72:73]
	v_add_f64 v[100:101], v[50:51], v[56:57]
	v_add_f64 v[102:103], v[58:59], -v[48:49]
	v_add_f64 v[104:105], v[60:61], -v[54:55]
	v_add_f64 v[106:107], v[52:53], v[62:63]
	v_add_f64 v[108:109], v[54:55], v[60:61]
	v_add_f64 v[110:111], v[62:63], -v[52:53]
	v_add_f64 v[112:113], v[56:57], -v[50:51]
	v_add_f64 v[114:115], v[48:49], v[58:59]
	v_add_f64 v[116:117], v[44:45], -v[74:75]
	v_add_f64 v[118:119], v[72:73], v[46:47]
	ds_write_b128 v147, v[92:95]
	ds_write_b128 v147, v[96:99] offset:80
	ds_write_b128 v147, v[100:103] offset:160
	;; [unrolled: 1-line block ×6, first 2 shown]
	s_waitcnt lgkmcnt(0)
	; wave barrier
	s_waitcnt lgkmcnt(0)
	s_and_saveexec_b64 s[12:13], s[2:3]
	s_cbranch_execz .LBB0_9
; %bb.8:
	ds_read_b128 v[92:95], v143
	ds_read_b128 v[96:99], v143 offset:560
	ds_read_b128 v[100:103], v143 offset:1120
	;; [unrolled: 1-line block ×9, first 2 shown]
.LBB0_9:
	s_or_b64 exec, exec, s[12:13]
	v_subrev_u32_e32 v44, 35, v144
	v_cndmask_b32_e64 v44, v44, v144, s[2:3]
	v_mul_hi_i32_i24_e32 v45, 0x90, v44
	v_mul_i32_i24_e32 v44, 0x90, v44
	v_mov_b32_e32 v46, s5
	v_add_co_u32_e64 v72, s[4:5], s4, v44
	v_addc_co_u32_e64 v73, s[4:5], v46, v45, s[4:5]
	global_load_dwordx4 v[44:47], v[72:73], off offset:480
	global_load_dwordx4 v[64:67], v[72:73], off offset:496
	;; [unrolled: 1-line block ×8, first 2 shown]
	s_nop 0
	global_load_dwordx4 v[72:75], v[72:73], off offset:608
	s_mov_b32 s4, 0x134454ff
	s_mov_b32 s5, 0x3fee6f0e
	;; [unrolled: 1-line block ×12, first 2 shown]
	s_waitcnt vmcnt(8) lgkmcnt(8)
	v_mul_f64 v[125:126], v[96:97], v[46:47]
	s_waitcnt vmcnt(7) lgkmcnt(7)
	v_mul_f64 v[127:128], v[102:103], v[66:67]
	;; [unrolled: 2-line block ×4, first 2 shown]
	v_mul_f64 v[123:124], v[98:99], v[46:47]
	s_waitcnt vmcnt(3) lgkmcnt(3)
	v_mul_f64 v[148:149], v[118:119], v[70:71]
	v_mul_f64 v[129:130], v[100:101], v[66:67]
	s_waitcnt vmcnt(1) lgkmcnt(1)
	v_mul_f64 v[156:157], v[86:87], v[78:79]
	v_mul_f64 v[133:134], v[104:105], v[50:51]
	;; [unrolled: 1-line block ×8, first 2 shown]
	v_fma_f64 v[98:99], v[98:99], v[44:45], v[125:126]
	v_fma_f64 v[100:101], v[100:101], v[64:65], -v[127:128]
	v_fma_f64 v[125:126], v[104:105], v[48:49], -v[131:132]
	;; [unrolled: 1-line block ×5, first 2 shown]
	v_mul_f64 v[154:155], v[80:81], v[58:59]
	s_waitcnt vmcnt(0) lgkmcnt(0)
	v_mul_f64 v[160:161], v[90:91], v[74:75]
	v_mul_f64 v[162:163], v[88:89], v[74:75]
	v_fma_f64 v[96:97], v[96:97], v[44:45], -v[123:124]
	v_fma_f64 v[102:103], v[102:103], v[64:65], v[129:130]
	v_fma_f64 v[127:128], v[106:107], v[48:49], v[133:134]
	;; [unrolled: 1-line block ×3, first 2 shown]
	v_fma_f64 v[129:130], v[112:113], v[60:61], -v[139:140]
	v_fma_f64 v[131:132], v[114:115], v[60:61], v[141:142]
	v_fma_f64 v[110:111], v[118:119], v[68:69], v[150:151]
	;; [unrolled: 1-line block ×3, first 2 shown]
	v_fma_f64 v[80:81], v[80:81], v[56:57], -v[152:153]
	v_add_f64 v[112:113], v[92:93], v[100:101]
	v_add_f64 v[114:115], v[104:105], v[108:109]
	;; [unrolled: 1-line block ×3, first 2 shown]
	v_fma_f64 v[82:83], v[82:83], v[56:57], v[154:155]
	v_fma_f64 v[88:89], v[88:89], v[72:73], -v[160:161]
	v_fma_f64 v[90:91], v[90:91], v[72:73], v[162:163]
	v_add_f64 v[116:117], v[102:103], -v[86:87]
	v_add_f64 v[118:119], v[106:107], -v[110:111]
	;; [unrolled: 1-line block ×6, first 2 shown]
	v_add_f64 v[141:142], v[94:95], v[102:103]
	v_add_f64 v[148:149], v[106:107], v[110:111]
	v_add_f64 v[150:151], v[100:101], -v[84:85]
	v_add_f64 v[152:153], v[104:105], -v[108:109]
	;; [unrolled: 1-line block ×4, first 2 shown]
	v_add_f64 v[156:157], v[102:103], v[86:87]
	v_add_f64 v[102:103], v[106:107], -v[102:103]
	v_add_f64 v[158:159], v[110:111], -v[86:87]
	v_add_f64 v[160:161], v[96:97], v[125:126]
	v_add_f64 v[162:163], v[129:130], v[80:81]
	;; [unrolled: 1-line block ×3, first 2 shown]
	v_fma_f64 v[114:115], v[114:115], -0.5, v[92:93]
	v_fma_f64 v[92:93], v[135:136], -0.5, v[92:93]
	v_add_f64 v[164:165], v[127:128], -v[90:91]
	v_add_f64 v[112:113], v[123:124], v[133:134]
	v_add_f64 v[123:124], v[137:138], v[139:140]
	;; [unrolled: 1-line block ×3, first 2 shown]
	v_fma_f64 v[133:134], v[148:149], -0.5, v[94:95]
	v_add_f64 v[135:136], v[100:101], v[154:155]
	v_fma_f64 v[94:95], v[156:157], -0.5, v[94:95]
	v_add_f64 v[137:138], v[102:103], v[158:159]
	v_add_f64 v[100:101], v[160:161], v[129:130]
	v_fma_f64 v[139:140], v[162:163], -0.5, v[96:97]
	v_add_f64 v[102:103], v[104:105], v[108:109]
	v_fma_f64 v[104:105], v[116:117], s[4:5], v[114:115]
	v_fma_f64 v[108:109], v[116:117], s[18:19], v[114:115]
	;; [unrolled: 1-line block ×4, first 2 shown]
	v_add_f64 v[166:167], v[131:132], -v[82:83]
	v_add_f64 v[168:169], v[125:126], -v[129:130]
	;; [unrolled: 1-line block ×3, first 2 shown]
	v_add_f64 v[106:107], v[106:107], v[110:111]
	v_fma_f64 v[148:149], v[150:151], s[18:19], v[133:134]
	v_fma_f64 v[133:134], v[150:151], s[4:5], v[133:134]
	;; [unrolled: 1-line block ×4, first 2 shown]
	v_add_f64 v[156:157], v[100:101], v[80:81]
	v_fma_f64 v[158:159], v[164:165], s[4:5], v[139:140]
	v_add_f64 v[100:101], v[102:103], v[84:85]
	v_fma_f64 v[102:103], v[118:119], s[20:21], v[108:109]
	v_fma_f64 v[108:109], v[116:117], s[12:13], v[114:115]
	;; [unrolled: 1-line block ×3, first 2 shown]
	v_add_f64 v[172:173], v[125:126], v[88:89]
	v_add_f64 v[174:175], v[131:132], v[82:83]
	;; [unrolled: 1-line block ×3, first 2 shown]
	v_fma_f64 v[84:85], v[118:119], s[12:13], v[104:105]
	v_add_f64 v[110:111], v[106:107], v[86:87]
	v_fma_f64 v[86:87], v[152:153], s[20:21], v[148:149]
	v_fma_f64 v[114:115], v[152:153], s[12:13], v[133:134]
	;; [unrolled: 1-line block ×7, first 2 shown]
	v_add_f64 v[92:93], v[127:128], v[90:91]
	v_fma_f64 v[96:97], v[172:173], -0.5, v[96:97]
	v_fma_f64 v[104:105], v[112:113], s[16:17], v[84:85]
	v_fma_f64 v[102:103], v[112:113], s[16:17], v[102:103]
	v_fma_f64 v[112:113], v[135:136], s[16:17], v[86:87]
	v_fma_f64 v[118:119], v[135:136], s[16:17], v[114:115]
	v_fma_f64 v[116:117], v[137:138], s[16:17], v[116:117]
	v_fma_f64 v[123:124], v[137:138], s[16:17], v[94:95]
	v_add_f64 v[114:115], v[156:157], v[88:89]
	v_fma_f64 v[94:95], v[141:142], s[16:17], v[133:134]
	v_fma_f64 v[133:134], v[174:175], -0.5, v[98:99]
	v_add_f64 v[135:136], v[125:126], -v[88:89]
	v_add_f64 v[137:138], v[129:130], -v[80:81]
	v_fma_f64 v[92:93], v[92:93], -0.5, v[98:99]
	v_add_f64 v[80:81], v[80:81], -v[88:89]
	v_add_f64 v[88:89], v[98:99], v[127:128]
	v_fma_f64 v[84:85], v[164:165], s[18:19], v[139:140]
	v_fma_f64 v[86:87], v[166:167], s[18:19], v[96:97]
	v_add_f64 v[125:126], v[129:130], -v[125:126]
	v_fma_f64 v[98:99], v[135:136], s[18:19], v[133:134]
	v_fma_f64 v[96:97], v[166:167], s[4:5], v[96:97]
	v_add_f64 v[129:130], v[127:128], -v[131:132]
	v_add_f64 v[139:140], v[90:91], -v[82:83]
	v_fma_f64 v[148:149], v[137:138], s[4:5], v[92:93]
	v_add_f64 v[127:128], v[131:132], -v[127:128]
	v_add_f64 v[150:151], v[82:83], -v[90:91]
	v_add_f64 v[88:89], v[88:89], v[131:132]
	v_fma_f64 v[131:132], v[135:136], s[4:5], v[133:134]
	v_fma_f64 v[92:93], v[137:138], s[18:19], v[92:93]
	;; [unrolled: 1-line block ×5, first 2 shown]
	v_add_f64 v[129:130], v[129:130], v[139:140]
	v_add_f64 v[80:81], v[125:126], v[80:81]
	v_fma_f64 v[125:126], v[135:136], s[20:21], v[148:149]
	v_add_f64 v[127:128], v[127:128], v[150:151]
	v_fma_f64 v[96:97], v[164:165], s[20:21], v[96:97]
	;; [unrolled: 2-line block ×3, first 2 shown]
	v_fma_f64 v[92:93], v[135:136], s[12:13], v[92:93]
	v_fma_f64 v[98:99], v[129:130], s[16:17], v[98:99]
	;; [unrolled: 1-line block ×6, first 2 shown]
	v_add_f64 v[125:126], v[82:83], v[90:91]
	v_fma_f64 v[82:83], v[129:130], s[16:17], v[88:89]
	v_fma_f64 v[88:89], v[127:128], s[16:17], v[92:93]
	v_mul_f64 v[90:91], v[98:99], s[12:13]
	v_mul_f64 v[133:134], v[84:85], s[22:23]
	;; [unrolled: 1-line block ×8, first 2 shown]
	v_fma_f64 v[127:128], v[94:95], s[22:23], v[90:91]
	v_fma_f64 v[133:134], v[82:83], s[12:13], -v[133:134]
	v_fma_f64 v[135:136], v[98:99], s[22:23], v[135:136]
	v_fma_f64 v[129:130], v[86:87], s[16:17], v[92:93]
	v_fma_f64 v[131:132], v[88:89], s[4:5], -v[96:97]
	v_fma_f64 v[137:138], v[137:138], s[16:17], v[139:140]
	v_add_f64 v[82:83], v[110:111], -v[125:126]
	v_fma_f64 v[139:140], v[80:81], s[18:19], -v[141:142]
	v_fma_f64 v[141:142], v[84:85], s[20:21], -v[148:149]
	v_add_f64 v[80:81], v[100:101], -v[114:115]
	v_add_f64 v[84:85], v[104:105], -v[127:128]
	;; [unrolled: 1-line block ×9, first 2 shown]
	s_and_saveexec_b64 s[4:5], s[2:3]
	s_cbranch_execz .LBB0_11
; %bb.10:
	v_add_f64 v[139:140], v[123:124], v[139:140]
	v_add_f64 v[125:126], v[110:111], v[125:126]
	;; [unrolled: 1-line block ×10, first 2 shown]
	ds_write_b128 v143, v[123:126]
	ds_write_b128 v143, v[110:113] offset:560
	ds_write_b128 v143, v[148:151] offset:1120
	ds_write_b128 v143, v[137:140] offset:1680
	ds_write_b128 v143, v[116:119] offset:2240
	ds_write_b128 v143, v[80:83] offset:2800
	ds_write_b128 v143, v[84:87] offset:3360
	ds_write_b128 v143, v[88:91] offset:3920
	ds_write_b128 v143, v[92:95] offset:4480
	ds_write_b128 v143, v[96:99] offset:5040
.LBB0_11:
	s_or_b64 exec, exec, s[4:5]
	v_mov_b32_e32 v100, s15
	v_addc_co_u32_e32 v115, vcc, 0, v100, vcc
	s_movk_i32 s4, 0x15e0
	v_add_co_u32_e32 v100, vcc, s4, v120
	s_movk_i32 s4, 0x2000
	v_addc_co_u32_e32 v101, vcc, 0, v115, vcc
	s_movk_i32 s12, 0x1000
	v_add_co_u32_e64 v110, s[4:5], s4, v120
	s_waitcnt lgkmcnt(0)
	; wave barrier
	s_waitcnt lgkmcnt(0)
	v_add_co_u32_e32 v114, vcc, s12, v120
	global_load_dwordx4 v[102:105], v[100:101], off offset:1120
	global_load_dwordx4 v[106:109], v[100:101], off offset:2240
	v_addc_co_u32_e64 v111, s[4:5], 0, v115, s[4:5]
	global_load_dwordx4 v[110:113], v[110:111], off offset:1888
	v_addc_co_u32_e32 v115, vcc, 0, v115, vcc
	global_load_dwordx4 v[114:117], v[114:115], off offset:1504
	s_nop 0
	global_load_dwordx4 v[123:126], v[100:101], off offset:3360
	ds_read_b128 v[127:130], v143 offset:1120
	ds_read_b128 v[131:134], v143
	ds_read_b128 v[135:138], v143 offset:2240
	ds_read_b128 v[139:142], v143 offset:3360
	;; [unrolled: 1-line block ×3, first 2 shown]
	s_waitcnt vmcnt(4) lgkmcnt(4)
	v_mul_f64 v[118:119], v[129:130], v[104:105]
	v_mul_f64 v[104:105], v[127:128], v[104:105]
	s_waitcnt vmcnt(3) lgkmcnt(2)
	v_mul_f64 v[152:153], v[137:138], v[108:109]
	v_mul_f64 v[108:109], v[135:136], v[108:109]
	;; [unrolled: 3-line block ×3, first 2 shown]
	s_waitcnt vmcnt(1)
	v_mul_f64 v[112:113], v[133:134], v[116:117]
	v_mul_f64 v[158:159], v[131:132], v[116:117]
	s_waitcnt vmcnt(0)
	v_mul_f64 v[160:161], v[141:142], v[125:126]
	v_mul_f64 v[162:163], v[139:140], v[125:126]
	v_fma_f64 v[116:117], v[127:128], v[102:103], -v[118:119]
	v_fma_f64 v[118:119], v[129:130], v[102:103], v[104:105]
	v_fma_f64 v[102:103], v[135:136], v[106:107], -v[152:153]
	v_fma_f64 v[104:105], v[137:138], v[106:107], v[108:109]
	;; [unrolled: 2-line block ×5, first 2 shown]
	ds_write_b128 v143, v[116:119] offset:1120
	ds_write_b128 v143, v[102:105] offset:2240
	ds_write_b128 v143, v[112:115]
	ds_write_b128 v143, v[125:128] offset:3360
	ds_write_b128 v143, v[106:109] offset:4480
	s_and_saveexec_b64 s[4:5], s[0:1]
	s_cbranch_execz .LBB0_13
; %bb.12:
	global_load_dwordx4 v[102:105], v[100:101], off offset:800
	global_load_dwordx4 v[106:109], v[100:101], off offset:1920
	global_load_dwordx4 v[110:113], v[100:101], off offset:3040
	v_add_co_u32_e32 v100, vcc, s12, v100
	v_addc_co_u32_e32 v101, vcc, 0, v101, vcc
	global_load_dwordx4 v[114:117], v[100:101], off offset:64
	global_load_dwordx4 v[123:126], v[100:101], off offset:1184
	ds_read_b128 v[127:130], v143 offset:800
	ds_read_b128 v[131:134], v143 offset:1920
	;; [unrolled: 1-line block ×5, first 2 shown]
	s_waitcnt vmcnt(4) lgkmcnt(4)
	v_mul_f64 v[100:101], v[129:130], v[104:105]
	v_mul_f64 v[104:105], v[127:128], v[104:105]
	s_waitcnt vmcnt(3) lgkmcnt(3)
	v_mul_f64 v[118:119], v[133:134], v[108:109]
	v_mul_f64 v[108:109], v[131:132], v[108:109]
	;; [unrolled: 3-line block ×5, first 2 shown]
	v_fma_f64 v[100:101], v[127:128], v[102:103], -v[100:101]
	v_fma_f64 v[102:103], v[129:130], v[102:103], v[104:105]
	v_fma_f64 v[104:105], v[131:132], v[106:107], -v[118:119]
	v_fma_f64 v[106:107], v[133:134], v[106:107], v[108:109]
	;; [unrolled: 2-line block ×5, first 2 shown]
	ds_write_b128 v143, v[100:103] offset:800
	ds_write_b128 v143, v[104:107] offset:1920
	;; [unrolled: 1-line block ×5, first 2 shown]
.LBB0_13:
	s_or_b64 exec, exec, s[4:5]
	s_waitcnt lgkmcnt(0)
	; wave barrier
	s_waitcnt lgkmcnt(0)
	ds_read_b128 v[116:119], v143
	ds_read_b128 v[100:103], v143 offset:1120
	ds_read_b128 v[104:107], v143 offset:2240
	ds_read_b128 v[108:111], v143 offset:3360
	ds_read_b128 v[112:115], v143 offset:4480
	s_and_saveexec_b64 s[4:5], s[0:1]
	s_cbranch_execz .LBB0_15
; %bb.14:
	ds_read_b128 v[80:83], v143 offset:800
	ds_read_b128 v[84:87], v143 offset:1920
	;; [unrolled: 1-line block ×5, first 2 shown]
.LBB0_15:
	s_or_b64 exec, exec, s[4:5]
	s_waitcnt lgkmcnt(1)
	v_add_f64 v[123:124], v[104:105], v[108:109]
	v_add_f64 v[125:126], v[116:117], v[100:101]
	s_waitcnt lgkmcnt(0)
	v_add_f64 v[127:128], v[102:103], -v[114:115]
	s_mov_b32 s18, 0x134454ff
	s_mov_b32 s19, 0xbfee6f0e
	v_add_f64 v[129:130], v[106:107], -v[110:111]
	v_add_f64 v[135:136], v[100:101], v[112:113]
	v_add_f64 v[139:140], v[106:107], v[110:111]
	v_fma_f64 v[123:124], v[123:124], -0.5, v[116:117]
	v_add_f64 v[125:126], v[125:126], v[104:105]
	s_mov_b32 s16, 0x4755a5e
	s_mov_b32 s17, 0xbfe2cf23
	;; [unrolled: 1-line block ×4, first 2 shown]
	v_add_f64 v[131:132], v[100:101], -v[104:105]
	v_add_f64 v[133:134], v[112:113], -v[108:109]
	v_fma_f64 v[137:138], v[127:128], s[18:19], v[123:124]
	v_fma_f64 v[116:117], v[135:136], -0.5, v[116:117]
	v_add_f64 v[125:126], v[125:126], v[108:109]
	v_fma_f64 v[123:124], v[127:128], s[12:13], v[123:124]
	v_add_f64 v[150:151], v[100:101], -v[112:113]
	v_fma_f64 v[139:140], v[139:140], -0.5, v[118:119]
	s_mov_b32 s15, 0x3fe2cf23
	s_mov_b32 s14, s16
	v_fma_f64 v[135:136], v[129:130], s[16:17], v[137:138]
	v_add_f64 v[137:138], v[118:119], v[102:103]
	v_add_f64 v[133:134], v[131:132], v[133:134]
	v_fma_f64 v[141:142], v[129:130], s[12:13], v[116:117]
	v_add_f64 v[131:132], v[125:126], v[112:113]
	v_fma_f64 v[123:124], v[129:130], s[14:15], v[123:124]
	v_add_f64 v[100:101], v[104:105], -v[100:101]
	v_add_f64 v[112:113], v[108:109], -v[112:113]
	v_fma_f64 v[116:117], v[129:130], s[18:19], v[116:117]
	v_add_f64 v[125:126], v[137:138], v[106:107]
	v_fma_f64 v[129:130], v[150:151], s[12:13], v[139:140]
	v_add_f64 v[104:105], v[104:105], -v[108:109]
	v_add_f64 v[108:109], v[102:103], -v[106:107]
	;; [unrolled: 1-line block ×3, first 2 shown]
	v_fma_f64 v[139:140], v[150:151], s[18:19], v[139:140]
	v_add_f64 v[148:149], v[102:103], v[114:115]
	v_add_f64 v[100:101], v[100:101], v[112:113]
	v_fma_f64 v[112:113], v[127:128], s[14:15], v[116:117]
	v_add_f64 v[116:117], v[125:126], v[110:111]
	v_fma_f64 v[125:126], v[104:105], s[14:15], v[129:130]
	v_add_f64 v[129:130], v[88:89], v[92:93]
	s_mov_b32 s4, 0x372fe950
	s_mov_b32 s5, 0x3fd3c6ef
	v_fma_f64 v[135:136], v[133:134], s[4:5], v[135:136]
	v_fma_f64 v[141:142], v[127:128], s[16:17], v[141:142]
	v_add_f64 v[108:109], v[108:109], v[137:138]
	v_fma_f64 v[127:128], v[104:105], s[16:17], v[139:140]
	v_fma_f64 v[118:119], v[148:149], -0.5, v[118:119]
	v_fma_f64 v[139:140], v[133:134], s[4:5], v[123:124]
	v_fma_f64 v[152:153], v[100:101], s[4:5], v[112:113]
	v_add_f64 v[133:134], v[116:117], v[114:115]
	v_fma_f64 v[112:113], v[129:130], -0.5, v[80:81]
	v_add_f64 v[116:117], v[86:87], -v[98:99]
	v_add_f64 v[102:103], v[106:107], -v[102:103]
	v_add_f64 v[106:107], v[110:111], -v[114:115]
	v_fma_f64 v[148:149], v[100:101], s[4:5], v[141:142]
	v_fma_f64 v[137:138], v[108:109], s[4:5], v[125:126]
	;; [unrolled: 1-line block ×5, first 2 shown]
	v_add_f64 v[114:115], v[90:91], -v[94:95]
	v_add_f64 v[108:109], v[84:85], v[96:97]
	v_add_f64 v[110:111], v[84:85], -v[88:89]
	v_add_f64 v[118:119], v[96:97], -v[92:93]
	v_fma_f64 v[123:124], v[116:117], s[12:13], v[112:113]
	v_add_f64 v[125:126], v[90:91], v[94:95]
	v_add_f64 v[102:103], v[102:103], v[106:107]
	;; [unrolled: 1-line block ×3, first 2 shown]
	v_add_f64 v[129:130], v[84:85], -v[96:97]
	v_fma_f64 v[108:109], v[108:109], -0.5, v[80:81]
	v_fma_f64 v[100:101], v[150:151], s[14:15], v[100:101]
	v_add_f64 v[118:119], v[110:111], v[118:119]
	v_fma_f64 v[110:111], v[114:115], s[14:15], v[123:124]
	v_fma_f64 v[123:124], v[125:126], -0.5, v[82:83]
	v_add_f64 v[125:126], v[88:89], -v[92:93]
	v_fma_f64 v[106:107], v[106:107], -0.5, v[82:83]
	v_fma_f64 v[104:105], v[150:151], s[16:17], v[104:105]
	v_fma_f64 v[127:128], v[114:115], s[12:13], v[108:109]
	v_add_f64 v[150:151], v[88:89], -v[84:85]
	v_add_f64 v[154:155], v[92:93], -v[96:97]
	v_fma_f64 v[108:109], v[114:115], s[18:19], v[108:109]
	v_add_f64 v[156:157], v[86:87], -v[90:91]
	v_add_f64 v[158:159], v[98:99], -v[94:95]
	v_fma_f64 v[160:161], v[129:130], s[18:19], v[123:124]
	v_fma_f64 v[162:163], v[125:126], s[18:19], v[106:107]
	v_add_f64 v[164:165], v[90:91], -v[86:87]
	v_add_f64 v[166:167], v[94:95], -v[98:99]
	v_fma_f64 v[106:107], v[125:126], s[12:13], v[106:107]
	v_fma_f64 v[168:169], v[116:117], s[16:17], v[127:128]
	v_add_f64 v[170:171], v[150:151], v[154:155]
	v_fma_f64 v[108:109], v[116:117], s[14:15], v[108:109]
	v_add_f64 v[127:128], v[156:157], v[158:159]
	v_fma_f64 v[156:157], v[125:126], s[16:17], v[160:161]
	v_fma_f64 v[158:159], v[129:130], s[14:15], v[162:163]
	v_add_f64 v[160:161], v[164:165], v[166:167]
	v_fma_f64 v[162:163], v[129:130], s[16:17], v[106:107]
	v_fma_f64 v[150:151], v[102:103], s[4:5], v[100:101]
	;; [unrolled: 1-line block ×9, first 2 shown]
	s_waitcnt lgkmcnt(0)
	; wave barrier
	ds_write_b128 v146, v[131:134]
	ds_write_b128 v146, v[135:138] offset:16
	ds_write_b128 v146, v[148:151] offset:32
	;; [unrolled: 1-line block ×4, first 2 shown]
	s_and_saveexec_b64 s[16:17], s[0:1]
	s_cbranch_execz .LBB0_17
; %bb.16:
	v_add_f64 v[82:83], v[82:83], v[86:87]
	v_add_f64 v[80:81], v[80:81], v[84:85]
	v_mul_f64 v[129:130], v[129:130], s[12:13]
	v_mul_f64 v[84:85], v[116:117], s[12:13]
	;; [unrolled: 1-line block ×4, first 2 shown]
	v_add_f64 v[82:83], v[82:83], v[90:91]
	v_add_f64 v[80:81], v[80:81], v[88:89]
	;; [unrolled: 1-line block ×3, first 2 shown]
	v_add_f64 v[84:85], v[112:113], -v[84:85]
	v_mul_f64 v[88:89], v[118:119], s[4:5]
	v_mul_f64 v[90:91], v[127:128], s[4:5]
	v_add_f64 v[94:95], v[82:83], v[94:95]
	v_add_f64 v[80:81], v[80:81], v[92:93]
	;; [unrolled: 1-line block ×3, first 2 shown]
	v_add_f64 v[92:93], v[84:85], -v[86:87]
	v_add_f64 v[86:87], v[94:95], v[98:99]
	v_add_f64 v[84:85], v[80:81], v[96:97]
	;; [unrolled: 1-line block ×4, first 2 shown]
	v_lshlrev_b32_e32 v88, 4, v145
	ds_write_b128 v88, v[100:103] offset:32
	ds_write_b128 v88, v[108:111] offset:48
	ds_write_b128 v88, v[84:87]
	ds_write_b128 v88, v[80:83] offset:16
	ds_write_b128 v88, v[104:107] offset:64
.LBB0_17:
	s_or_b64 exec, exec, s[16:17]
	s_waitcnt lgkmcnt(0)
	; wave barrier
	s_waitcnt lgkmcnt(0)
	ds_read_b128 v[80:83], v143 offset:800
	ds_read_b128 v[84:87], v143 offset:1600
	;; [unrolled: 1-line block ×3, first 2 shown]
	ds_read_b128 v[92:95], v143
	ds_read_b128 v[96:99], v143 offset:3200
	ds_read_b128 v[112:115], v143 offset:4000
	;; [unrolled: 1-line block ×3, first 2 shown]
	s_mov_b32 s4, 0x37e14327
	s_waitcnt lgkmcnt(6)
	v_mul_f64 v[123:124], v[34:35], v[82:83]
	v_mul_f64 v[34:35], v[34:35], v[80:81]
	s_waitcnt lgkmcnt(5)
	v_mul_f64 v[125:126], v[30:31], v[86:87]
	v_mul_f64 v[30:31], v[30:31], v[84:85]
	s_mov_b32 s5, 0x3fe948f6
	s_mov_b32 s12, 0xe976ee23
	;; [unrolled: 1-line block ×4, first 2 shown]
	v_fma_f64 v[80:81], v[32:33], v[80:81], v[123:124]
	v_fma_f64 v[32:33], v[32:33], v[82:83], -v[34:35]
	v_fma_f64 v[34:35], v[28:29], v[84:85], v[125:126]
	v_fma_f64 v[28:29], v[28:29], v[86:87], -v[30:31]
	s_waitcnt lgkmcnt(0)
	v_mul_f64 v[30:31], v[38:39], v[118:119]
	v_mul_f64 v[38:39], v[38:39], v[116:117]
	;; [unrolled: 1-line block ×8, first 2 shown]
	v_fma_f64 v[30:31], v[36:37], v[116:117], v[30:31]
	v_fma_f64 v[36:37], v[36:37], v[118:119], -v[38:39]
	v_fma_f64 v[38:39], v[24:25], v[88:89], v[82:83]
	v_fma_f64 v[24:25], v[24:25], v[90:91], -v[26:27]
	;; [unrolled: 2-line block ×4, first 2 shown]
	v_add_f64 v[22:23], v[80:81], v[30:31]
	v_add_f64 v[82:83], v[32:33], v[36:37]
	v_add_f64 v[30:31], v[80:81], -v[30:31]
	v_add_f64 v[32:33], v[32:33], -v[36:37]
	v_add_f64 v[36:37], v[34:35], v[26:27]
	v_add_f64 v[80:81], v[28:29], v[40:41]
	v_add_f64 v[26:27], v[34:35], -v[26:27]
	v_add_f64 v[28:29], v[28:29], -v[40:41]
	;; [unrolled: 4-line block ×4, first 2 shown]
	v_add_f64 v[88:89], v[22:23], -v[34:35]
	v_add_f64 v[82:83], v[82:83], -v[40:41]
	v_add_f64 v[36:37], v[34:35], -v[36:37]
	v_add_f64 v[80:81], v[40:41], -v[80:81]
	v_add_f64 v[90:91], v[20:21], v[28:29]
	v_add_f64 v[22:23], v[38:39], v[26:27]
	v_add_f64 v[96:97], v[38:39], -v[26:27]
	v_add_f64 v[98:99], v[20:21], -v[28:29]
	v_add_f64 v[24:25], v[34:35], v[24:25]
	v_add_f64 v[34:35], v[40:41], v[42:43]
	v_add_f64 v[26:27], v[26:27], -v[30:31]
	v_add_f64 v[28:29], v[28:29], -v[32:33]
	v_mul_f64 v[42:43], v[88:89], s[4:5]
	v_mul_f64 v[82:83], v[82:83], s[4:5]
	s_mov_b32 s4, 0x36b3c0b5
	s_mov_b32 s5, 0x3fac98ee
	v_add_f64 v[40:41], v[32:33], -v[20:21]
	v_add_f64 v[32:33], v[90:91], v[32:33]
	v_mul_f64 v[88:89], v[36:37], s[4:5]
	v_mul_f64 v[90:91], v[80:81], s[4:5]
	v_add_f64 v[38:39], v[30:31], -v[38:39]
	v_add_f64 v[30:31], v[22:23], v[30:31]
	v_add_f64 v[20:21], v[92:93], v[24:25]
	v_add_f64 v[22:23], v[94:95], v[34:35]
	v_mul_f64 v[92:93], v[96:97], s[12:13]
	v_mul_f64 v[94:95], v[98:99], s[12:13]
	s_mov_b32 s12, 0x429ad128
	s_mov_b32 s13, 0xbfebfeb5
	v_mul_f64 v[96:97], v[26:27], s[12:13]
	v_mul_f64 v[98:99], v[28:29], s[12:13]
	v_fma_f64 v[36:37], v[36:37], s[4:5], v[42:43]
	v_fma_f64 v[80:81], v[80:81], s[4:5], v[82:83]
	s_mov_b32 s5, 0x3fe77f67
	s_mov_b32 s4, 0x5476071b
	v_fma_f64 v[88:89], v[84:85], s[4:5], -v[88:89]
	v_fma_f64 v[90:91], v[86:87], s[4:5], -v[90:91]
	s_mov_b32 s5, 0xbfe77f67
	v_fma_f64 v[42:43], v[84:85], s[4:5], -v[42:43]
	v_fma_f64 v[82:83], v[86:87], s[4:5], -v[82:83]
	s_mov_b32 s5, 0xbfd5d0dc
	s_mov_b32 s4, 0xb247c609
	;; [unrolled: 1-line block ×3, first 2 shown]
	v_fma_f64 v[84:85], v[38:39], s[4:5], v[92:93]
	v_fma_f64 v[86:87], v[40:41], s[4:5], v[94:95]
	s_mov_b32 s5, 0x3fd5d0dc
	v_fma_f64 v[24:25], v[24:25], s[14:15], v[20:21]
	v_fma_f64 v[34:35], v[34:35], s[14:15], v[22:23]
	v_fma_f64 v[26:27], v[26:27], s[12:13], -v[92:93]
	v_fma_f64 v[28:29], v[28:29], s[12:13], -v[94:95]
	;; [unrolled: 1-line block ×4, first 2 shown]
	s_mov_b32 s4, 0x37c3f68c
	s_mov_b32 s5, 0xbfdc38aa
	v_add_f64 v[92:93], v[36:37], v[24:25]
	v_add_f64 v[94:95], v[80:81], v[34:35]
	;; [unrolled: 1-line block ×6, first 2 shown]
	v_fma_f64 v[82:83], v[32:33], s[4:5], v[86:87]
	v_fma_f64 v[84:85], v[30:31], s[4:5], v[84:85]
	;; [unrolled: 1-line block ×6, first 2 shown]
	s_waitcnt lgkmcnt(0)
	; wave barrier
	v_add_f64 v[24:25], v[82:83], v[92:93]
	v_add_f64 v[26:27], v[94:95], -v[84:85]
	v_add_f64 v[36:37], v[86:87], v[90:91]
	v_add_f64 v[38:39], v[34:35], -v[96:97]
	v_add_f64 v[28:29], v[80:81], -v[32:33]
	v_add_f64 v[30:31], v[42:43], v[88:89]
	v_add_f64 v[40:41], v[32:33], v[80:81]
	v_add_f64 v[42:43], v[88:89], -v[42:43]
	v_add_f64 v[32:33], v[90:91], -v[86:87]
	v_add_f64 v[34:35], v[96:97], v[34:35]
	v_add_f64 v[80:81], v[92:93], -v[82:83]
	v_add_f64 v[82:83], v[84:85], v[94:95]
	ds_write_b128 v147, v[20:23]
	ds_write_b128 v147, v[24:27] offset:80
	ds_write_b128 v147, v[36:39] offset:160
	;; [unrolled: 1-line block ×6, first 2 shown]
	s_waitcnt lgkmcnt(0)
	; wave barrier
	s_waitcnt lgkmcnt(0)
	s_and_saveexec_b64 s[4:5], s[2:3]
	s_cbranch_execz .LBB0_19
; %bb.18:
	ds_read_b128 v[20:23], v143
	ds_read_b128 v[24:27], v143 offset:560
	ds_read_b128 v[36:39], v143 offset:1120
	;; [unrolled: 1-line block ×9, first 2 shown]
.LBB0_19:
	s_or_b64 exec, exec, s[4:5]
	s_and_saveexec_b64 s[4:5], s[2:3]
	s_cbranch_execz .LBB0_21
; %bb.20:
	s_waitcnt lgkmcnt(5)
	v_mul_f64 v[84:85], v[54:55], v[40:41]
	s_waitcnt lgkmcnt(3)
	v_mul_f64 v[86:87], v[70:71], v[80:81]
	v_mul_f64 v[88:89], v[66:67], v[36:37]
	s_waitcnt lgkmcnt(1)
	v_mul_f64 v[90:91], v[78:79], v[108:109]
	v_mul_f64 v[66:67], v[66:67], v[38:39]
	;; [unrolled: 1-line block ×3, first 2 shown]
	s_mov_b32 s2, 0x134454ff
	s_mov_b32 s3, 0xbfee6f0e
	v_fma_f64 v[84:85], v[52:53], v[42:43], -v[84:85]
	v_fma_f64 v[86:87], v[68:69], v[82:83], -v[86:87]
	v_mul_f64 v[42:43], v[54:55], v[42:43]
	v_mul_f64 v[54:55], v[70:71], v[82:83]
	v_fma_f64 v[38:39], v[64:65], v[38:39], -v[88:89]
	v_fma_f64 v[70:71], v[76:77], v[110:111], -v[90:91]
	v_fma_f64 v[64:65], v[64:65], v[36:37], v[66:67]
	v_fma_f64 v[66:67], v[76:77], v[108:109], v[78:79]
	v_mul_f64 v[76:77], v[62:63], v[34:35]
	v_add_f64 v[36:37], v[84:85], v[86:87]
	v_mul_f64 v[78:79], v[58:59], v[102:103]
	v_fma_f64 v[42:43], v[52:53], v[40:41], v[42:43]
	v_fma_f64 v[52:53], v[68:69], v[80:81], v[54:55]
	v_add_f64 v[40:41], v[38:39], -v[84:85]
	v_add_f64 v[54:55], v[70:71], -v[86:87]
	v_add_f64 v[68:69], v[64:65], -v[66:67]
	v_mul_f64 v[80:81], v[50:51], v[30:31]
	v_fma_f64 v[36:37], v[36:37], -0.5, v[22:23]
	s_waitcnt lgkmcnt(0)
	v_mul_f64 v[82:83], v[74:75], v[106:107]
	v_mul_f64 v[88:89], v[46:47], v[26:27]
	v_mul_f64 v[50:51], v[50:51], v[28:29]
	v_mul_f64 v[74:75], v[74:75], v[104:105]
	v_fma_f64 v[76:77], v[60:61], v[32:33], v[76:77]
	v_fma_f64 v[78:79], v[56:57], v[100:101], v[78:79]
	v_add_f64 v[90:91], v[42:43], -v[52:53]
	v_add_f64 v[40:41], v[40:41], v[54:55]
	v_fma_f64 v[54:55], v[68:69], s[2:3], v[36:37]
	v_mul_f64 v[32:33], v[62:63], v[32:33]
	v_fma_f64 v[62:63], v[48:49], v[28:29], v[80:81]
	v_mul_f64 v[28:29], v[58:59], v[100:101]
	v_fma_f64 v[80:81], v[44:45], v[24:25], v[88:89]
	v_fma_f64 v[30:31], v[48:49], v[30:31], -v[50:51]
	v_fma_f64 v[48:49], v[72:73], v[106:107], -v[74:75]
	v_mul_f64 v[24:25], v[46:47], v[24:25]
	s_mov_b32 s14, 0x4755a5e
	s_mov_b32 s15, 0xbfe2cf23
	v_fma_f64 v[58:59], v[72:73], v[104:105], v[82:83]
	v_add_f64 v[82:83], v[76:77], v[78:79]
	v_fma_f64 v[32:33], v[60:61], v[34:35], -v[32:33]
	v_fma_f64 v[34:35], v[56:57], v[102:103], -v[28:29]
	v_add_f64 v[92:93], v[76:77], -v[78:79]
	v_fma_f64 v[26:27], v[44:45], v[26:27], -v[24:25]
	v_fma_f64 v[44:45], v[90:91], s[14:15], v[54:55]
	v_add_f64 v[54:55], v[30:31], v[48:49]
	v_add_f64 v[88:89], v[62:63], v[58:59]
	v_fma_f64 v[50:51], v[82:83], -0.5, v[80:81]
	v_add_f64 v[74:75], v[30:31], -v[32:33]
	v_add_f64 v[82:83], v[48:49], -v[34:35]
	s_mov_b32 s17, 0x3fee6f0e
	s_mov_b32 s16, s2
	v_add_f64 v[60:61], v[62:63], -v[58:59]
	v_fma_f64 v[54:55], v[54:55], -0.5, v[26:27]
	v_add_f64 v[72:73], v[32:33], -v[34:35]
	v_add_f64 v[96:97], v[38:39], v[70:71]
	v_add_f64 v[98:99], v[34:35], -v[48:49]
	v_add_f64 v[74:75], v[74:75], v[82:83]
	v_fma_f64 v[82:83], v[88:89], -0.5, v[80:81]
	v_add_f64 v[88:89], v[32:33], -v[30:31]
	s_mov_b32 s19, 0x3fe2cf23
	v_fma_f64 v[100:101], v[92:93], s[16:17], v[54:55]
	v_fma_f64 v[54:55], v[92:93], s[2:3], v[54:55]
	s_mov_b32 s18, s14
	v_add_f64 v[28:29], v[62:63], -v[76:77]
	v_add_f64 v[46:47], v[58:59], -v[78:79]
	v_add_f64 v[56:57], v[30:31], -v[48:49]
	v_add_f64 v[24:25], v[32:33], v[34:35]
	v_fma_f64 v[96:97], v[96:97], -0.5, v[22:23]
	v_add_f64 v[102:103], v[76:77], -v[62:63]
	v_add_f64 v[104:105], v[78:79], -v[58:59]
	v_fma_f64 v[106:107], v[72:73], s[2:3], v[82:83]
	v_add_f64 v[88:89], v[88:89], v[98:99]
	v_fma_f64 v[82:83], v[72:73], s[16:17], v[82:83]
	v_fma_f64 v[54:55], v[60:61], s[18:19], v[54:55]
	s_mov_b32 s12, 0x372fe950
	s_mov_b32 s13, 0x3fd3c6ef
	v_add_f64 v[46:47], v[28:29], v[46:47]
	v_fma_f64 v[28:29], v[56:57], s[16:17], v[50:51]
	v_fma_f64 v[24:25], v[24:25], -0.5, v[26:27]
	v_fma_f64 v[98:99], v[60:61], s[14:15], v[100:101]
	v_add_f64 v[100:101], v[84:85], -v[38:39]
	v_add_f64 v[108:109], v[86:87], -v[70:71]
	v_fma_f64 v[110:111], v[90:91], s[16:17], v[96:97]
	v_add_f64 v[102:103], v[102:103], v[104:105]
	v_fma_f64 v[104:105], v[56:57], s[18:19], v[106:107]
	v_fma_f64 v[96:97], v[90:91], s[2:3], v[96:97]
	;; [unrolled: 1-line block ×5, first 2 shown]
	v_add_f64 v[22:23], v[22:23], v[38:39]
	v_add_f64 v[26:27], v[26:27], v[30:31]
	;; [unrolled: 1-line block ×3, first 2 shown]
	v_fma_f64 v[108:109], v[68:69], s[14:15], v[110:111]
	v_fma_f64 v[96:97], v[68:69], s[18:19], v[96:97]
	;; [unrolled: 1-line block ×4, first 2 shown]
	v_mul_f64 v[68:69], v[54:55], s[12:13]
	v_add_f64 v[22:23], v[22:23], v[84:85]
	v_add_f64 v[26:27], v[26:27], v[32:33]
	;; [unrolled: 1-line block ×3, first 2 shown]
	v_fma_f64 v[94:95], v[60:61], s[2:3], v[24:25]
	v_fma_f64 v[60:61], v[60:61], s[16:17], v[24:25]
	;; [unrolled: 1-line block ×4, first 2 shown]
	v_add_f64 v[38:39], v[38:39], -v[70:71]
	v_add_f64 v[22:23], v[22:23], v[86:87]
	v_add_f64 v[26:27], v[26:27], v[34:35]
	v_fma_f64 v[34:35], v[56:57], s[16:17], v[68:69]
	v_add_f64 v[68:69], v[64:65], v[66:67]
	v_fma_f64 v[72:73], v[32:33], -0.5, v[20:21]
	v_add_f64 v[62:63], v[80:81], v[62:63]
	v_fma_f64 v[60:61], v[92:93], s[18:19], v[60:61]
	v_fma_f64 v[94:95], v[92:93], s[14:15], v[94:95]
	v_add_f64 v[70:71], v[22:23], v[70:71]
	v_add_f64 v[82:83], v[26:27], v[48:49]
	v_add_f64 v[22:23], v[84:85], -v[86:87]
	v_fma_f64 v[26:27], v[68:69], -0.5, v[20:21]
	v_add_f64 v[20:21], v[20:21], v[64:65]
	v_fma_f64 v[98:99], v[88:89], s[12:13], v[98:99]
	v_fma_f64 v[30:31], v[90:91], s[18:19], v[30:31]
	v_add_f64 v[48:49], v[64:65], -v[42:43]
	v_add_f64 v[68:69], v[66:67], -v[52:53]
	v_fma_f64 v[84:85], v[38:39], s[16:17], v[72:73]
	v_add_f64 v[86:87], v[42:43], -v[64:65]
	v_add_f64 v[88:89], v[52:53], -v[66:67]
	v_fma_f64 v[90:91], v[22:23], s[2:3], v[26:27]
	v_fma_f64 v[26:27], v[22:23], s[16:17], v[26:27]
	v_add_f64 v[20:21], v[20:21], v[42:43]
	v_add_f64 v[42:43], v[62:63], v[76:77]
	v_fma_f64 v[60:61], v[74:75], s[12:13], v[60:61]
	v_fma_f64 v[72:73], v[38:39], s[2:3], v[72:73]
	;; [unrolled: 1-line block ×3, first 2 shown]
	s_mov_b32 s20, 0x9b97f4a8
	s_mov_b32 s21, 0xbfe9e377
	;; [unrolled: 1-line block ×4, first 2 shown]
	v_add_f64 v[48:49], v[48:49], v[68:69]
	v_fma_f64 v[68:69], v[22:23], s[18:19], v[84:85]
	v_add_f64 v[80:81], v[86:87], v[88:89]
	v_fma_f64 v[84:85], v[38:39], s[18:19], v[90:91]
	v_fma_f64 v[38:39], v[38:39], s[14:15], v[26:27]
	v_add_f64 v[20:21], v[20:21], v[52:53]
	v_add_f64 v[42:43], v[42:43], v[78:79]
	v_fma_f64 v[106:107], v[46:47], s[12:13], v[28:29]
	v_fma_f64 v[46:47], v[46:47], s[12:13], v[36:37]
	v_mul_f64 v[36:37], v[60:61], s[24:25]
	v_fma_f64 v[72:73], v[22:23], s[14:15], v[72:73]
	v_mul_f64 v[52:53], v[60:61], s[14:15]
	s_mov_b32 s23, 0xbfd3c6ef
	s_mov_b32 s22, s12
	v_mul_f64 v[54:55], v[54:55], s[2:3]
	v_fma_f64 v[104:105], v[102:103], s[12:13], v[104:105]
	v_mul_f64 v[110:111], v[98:99], s[22:23]
	v_mul_f64 v[86:87], v[98:99], s[2:3]
	;; [unrolled: 1-line block ×4, first 2 shown]
	v_fma_f64 v[78:79], v[80:81], s[12:13], v[38:39]
	v_add_f64 v[20:21], v[20:21], v[66:67]
	v_add_f64 v[38:39], v[42:43], v[58:59]
	v_fma_f64 v[30:31], v[40:41], s[12:13], v[30:31]
	v_fma_f64 v[74:75], v[46:47], s[18:19], v[36:37]
	;; [unrolled: 1-line block ×14, first 2 shown]
	v_add_f64 v[60:61], v[70:71], v[82:83]
	v_add_f64 v[58:59], v[20:21], v[38:39]
	;; [unrolled: 1-line block ×4, first 2 shown]
	v_add_f64 v[32:33], v[50:51], -v[34:35]
	v_add_f64 v[52:53], v[50:51], v[34:35]
	v_add_f64 v[50:51], v[78:79], v[80:81]
	;; [unrolled: 1-line block ×4, first 2 shown]
	v_add_f64 v[24:25], v[44:45], -v[112:113]
	v_add_f64 v[44:45], v[44:45], v[112:113]
	v_add_f64 v[42:43], v[62:63], v[64:65]
	v_add_f64 v[40:41], v[70:71], -v[82:83]
	v_add_f64 v[38:39], v[20:21], -v[38:39]
	;; [unrolled: 1-line block ×8, first 2 shown]
	ds_write_b128 v143, v[58:61]
	ds_write_b128 v143, v[54:57] offset:560
	ds_write_b128 v143, v[50:53] offset:1120
	;; [unrolled: 1-line block ×9, first 2 shown]
.LBB0_21:
	s_or_b64 exec, exec, s[4:5]
	s_waitcnt lgkmcnt(0)
	; wave barrier
	s_waitcnt lgkmcnt(0)
	ds_read_b128 v[20:23], v143
	ds_read_b128 v[24:27], v143 offset:1120
	v_mad_u64_u32 v[30:31], s[2:3], s10, v122, 0
	v_mad_u64_u32 v[32:33], s[4:5], s8, v144, 0
	s_waitcnt lgkmcnt(1)
	v_mul_f64 v[28:29], v[18:19], v[22:23]
	v_mul_f64 v[18:19], v[18:19], v[20:21]
	s_mov_b32 s2, 0xe434a9b1
	s_mov_b32 s3, 0x3f6767dc
	v_fma_f64 v[20:21], v[16:17], v[20:21], v[28:29]
	v_fma_f64 v[18:19], v[16:17], v[22:23], -v[18:19]
	v_mad_u64_u32 v[16:17], s[4:5], s11, v122, v[31:32]
	v_mov_b32_e32 v17, v33
	v_mov_b32_e32 v28, s7
	;; [unrolled: 1-line block ×3, first 2 shown]
	v_mad_u64_u32 v[22:23], s[4:5], s9, v144, v[17:18]
	v_mul_f64 v[16:17], v[20:21], s[2:3]
	v_mul_f64 v[18:19], v[18:19], s[2:3]
	v_mov_b32_e32 v33, v22
	s_waitcnt lgkmcnt(0)
	v_mul_f64 v[22:23], v[14:15], v[26:27]
	v_mul_f64 v[14:15], v[14:15], v[24:25]
	v_lshlrev_b64 v[20:21], 4, v[30:31]
	s_mul_i32 s4, s9, 0x46
	v_add_co_u32_e32 v29, vcc, s6, v20
	v_addc_co_u32_e32 v30, vcc, v28, v21, vcc
	v_fma_f64 v[22:23], v[12:13], v[24:25], v[22:23]
	v_fma_f64 v[24:25], v[12:13], v[26:27], -v[14:15]
	ds_read_b128 v[12:15], v143 offset:2240
	v_lshlrev_b64 v[20:21], 4, v[32:33]
	s_mul_hi_u32 s5, s8, 0x46
	v_add_co_u32_e32 v28, vcc, v29, v20
	v_addc_co_u32_e32 v29, vcc, v30, v21, vcc
	global_store_dwordx4 v[28:29], v[16:19], off
	s_add_i32 s5, s5, s4
	v_mul_f64 v[16:17], v[22:23], s[2:3]
	ds_read_b128 v[20:23], v143 offset:3360
	s_waitcnt lgkmcnt(1)
	v_mul_f64 v[30:31], v[6:7], v[14:15]
	v_mul_f64 v[6:7], v[6:7], v[12:13]
	;; [unrolled: 1-line block ×3, first 2 shown]
	ds_read_b128 v[24:27], v143 offset:4480
	s_mul_i32 s4, s8, 0x46
	s_lshl_b64 s[4:5], s[4:5], 4
	v_mov_b32_e32 v32, s5
	v_add_co_u32_e32 v28, vcc, s4, v28
	v_fma_f64 v[12:13], v[4:5], v[12:13], v[30:31]
	v_fma_f64 v[4:5], v[4:5], v[14:15], -v[6:7]
	s_waitcnt lgkmcnt(1)
	v_mul_f64 v[6:7], v[2:3], v[22:23]
	v_mul_f64 v[14:15], v[2:3], v[20:21]
	s_waitcnt lgkmcnt(0)
	v_mul_f64 v[30:31], v[10:11], v[26:27]
	v_mul_f64 v[10:11], v[10:11], v[24:25]
	v_addc_co_u32_e32 v29, vcc, v29, v32, vcc
	v_mul_f64 v[2:3], v[12:13], s[2:3]
	v_mul_f64 v[4:5], v[4:5], s[2:3]
	v_fma_f64 v[6:7], v[0:1], v[20:21], v[6:7]
	v_fma_f64 v[0:1], v[0:1], v[22:23], -v[14:15]
	v_fma_f64 v[12:13], v[8:9], v[24:25], v[30:31]
	v_fma_f64 v[10:11], v[8:9], v[26:27], -v[10:11]
	v_add_co_u32_e32 v14, vcc, s4, v28
	v_addc_co_u32_e32 v15, vcc, v29, v32, vcc
	v_mul_f64 v[6:7], v[6:7], s[2:3]
	v_mul_f64 v[8:9], v[0:1], s[2:3]
	global_store_dwordx4 v[28:29], v[16:19], off
	global_store_dwordx4 v[14:15], v[2:5], off
	v_add_co_u32_e32 v0, vcc, s4, v14
	v_mul_f64 v[2:3], v[12:13], s[2:3]
	v_mul_f64 v[4:5], v[10:11], s[2:3]
	v_addc_co_u32_e32 v1, vcc, v15, v32, vcc
	global_store_dwordx4 v[0:1], v[6:9], off
	v_add_co_u32_e32 v0, vcc, s4, v0
	v_addc_co_u32_e32 v1, vcc, v1, v32, vcc
	global_store_dwordx4 v[0:1], v[2:5], off
	s_and_b64 exec, exec, s[0:1]
	s_cbranch_execz .LBB0_23
; %bb.22:
	s_movk_i32 s0, 0x1000
	global_load_dwordx4 v[2:5], v[120:121], off offset:800
	global_load_dwordx4 v[6:9], v[120:121], off offset:1920
	;; [unrolled: 1-line block ×3, first 2 shown]
	v_add_co_u32_e32 v22, vcc, s0, v120
	v_addc_co_u32_e32 v23, vcc, 0, v121, vcc
	global_load_dwordx4 v[14:17], v[22:23], off offset:64
	global_load_dwordx4 v[18:21], v[22:23], off offset:1184
	ds_read_b128 v[22:25], v143 offset:800
	ds_read_b128 v[26:29], v143 offset:1920
	v_mov_b32_e32 v30, 0xfffff1a0
	v_mad_u64_u32 v[42:43], s[0:1], s8, v30, v[0:1]
	ds_read_b128 v[30:33], v143 offset:3040
	ds_read_b128 v[34:37], v143 offset:4160
	;; [unrolled: 1-line block ×3, first 2 shown]
	s_mul_i32 s6, s9, 0xfffff1a0
	s_sub_i32 s0, s6, s8
	v_mov_b32_e32 v58, s5
	v_add_u32_e32 v43, s0, v43
	v_add_co_u32_e32 v44, vcc, s4, v42
	v_addc_co_u32_e32 v45, vcc, v43, v58, vcc
	v_add_co_u32_e32 v46, vcc, s4, v44
	v_addc_co_u32_e32 v47, vcc, v45, v58, vcc
	;; [unrolled: 2-line block ×3, first 2 shown]
	s_waitcnt vmcnt(4) lgkmcnt(4)
	v_mul_f64 v[0:1], v[24:25], v[4:5]
	v_mul_f64 v[4:5], v[22:23], v[4:5]
	s_waitcnt vmcnt(3) lgkmcnt(3)
	v_mul_f64 v[50:51], v[28:29], v[8:9]
	v_mul_f64 v[8:9], v[26:27], v[8:9]
	;; [unrolled: 3-line block ×5, first 2 shown]
	v_fma_f64 v[0:1], v[22:23], v[2:3], v[0:1]
	v_fma_f64 v[2:3], v[2:3], v[24:25], -v[4:5]
	v_fma_f64 v[4:5], v[26:27], v[6:7], v[50:51]
	v_fma_f64 v[6:7], v[6:7], v[28:29], -v[8:9]
	;; [unrolled: 2-line block ×5, first 2 shown]
	v_mul_f64 v[0:1], v[0:1], s[2:3]
	v_mul_f64 v[2:3], v[2:3], s[2:3]
	;; [unrolled: 1-line block ×10, first 2 shown]
	v_add_co_u32_e32 v20, vcc, s4, v48
	v_addc_co_u32_e32 v21, vcc, v49, v58, vcc
	global_store_dwordx4 v[42:43], v[0:3], off
	global_store_dwordx4 v[44:45], v[4:7], off
	;; [unrolled: 1-line block ×5, first 2 shown]
.LBB0_23:
	s_endpgm
	.section	.rodata,"a",@progbits
	.p2align	6, 0x0
	.amdhsa_kernel bluestein_single_fwd_len350_dim1_dp_op_CI_CI
		.amdhsa_group_segment_fixed_size 5600
		.amdhsa_private_segment_fixed_size 0
		.amdhsa_kernarg_size 104
		.amdhsa_user_sgpr_count 6
		.amdhsa_user_sgpr_private_segment_buffer 1
		.amdhsa_user_sgpr_dispatch_ptr 0
		.amdhsa_user_sgpr_queue_ptr 0
		.amdhsa_user_sgpr_kernarg_segment_ptr 1
		.amdhsa_user_sgpr_dispatch_id 0
		.amdhsa_user_sgpr_flat_scratch_init 0
		.amdhsa_user_sgpr_private_segment_size 0
		.amdhsa_uses_dynamic_stack 0
		.amdhsa_system_sgpr_private_segment_wavefront_offset 0
		.amdhsa_system_sgpr_workgroup_id_x 1
		.amdhsa_system_sgpr_workgroup_id_y 0
		.amdhsa_system_sgpr_workgroup_id_z 0
		.amdhsa_system_sgpr_workgroup_info 0
		.amdhsa_system_vgpr_workitem_id 0
		.amdhsa_next_free_vgpr 176
		.amdhsa_next_free_sgpr 28
		.amdhsa_reserve_vcc 1
		.amdhsa_reserve_flat_scratch 0
		.amdhsa_float_round_mode_32 0
		.amdhsa_float_round_mode_16_64 0
		.amdhsa_float_denorm_mode_32 3
		.amdhsa_float_denorm_mode_16_64 3
		.amdhsa_dx10_clamp 1
		.amdhsa_ieee_mode 1
		.amdhsa_fp16_overflow 0
		.amdhsa_exception_fp_ieee_invalid_op 0
		.amdhsa_exception_fp_denorm_src 0
		.amdhsa_exception_fp_ieee_div_zero 0
		.amdhsa_exception_fp_ieee_overflow 0
		.amdhsa_exception_fp_ieee_underflow 0
		.amdhsa_exception_fp_ieee_inexact 0
		.amdhsa_exception_int_div_zero 0
	.end_amdhsa_kernel
	.text
.Lfunc_end0:
	.size	bluestein_single_fwd_len350_dim1_dp_op_CI_CI, .Lfunc_end0-bluestein_single_fwd_len350_dim1_dp_op_CI_CI
                                        ; -- End function
	.section	.AMDGPU.csdata,"",@progbits
; Kernel info:
; codeLenInByte = 11220
; NumSgprs: 32
; NumVgprs: 176
; ScratchSize: 0
; MemoryBound: 0
; FloatMode: 240
; IeeeMode: 1
; LDSByteSize: 5600 bytes/workgroup (compile time only)
; SGPRBlocks: 3
; VGPRBlocks: 43
; NumSGPRsForWavesPerEU: 32
; NumVGPRsForWavesPerEU: 176
; Occupancy: 1
; WaveLimiterHint : 1
; COMPUTE_PGM_RSRC2:SCRATCH_EN: 0
; COMPUTE_PGM_RSRC2:USER_SGPR: 6
; COMPUTE_PGM_RSRC2:TRAP_HANDLER: 0
; COMPUTE_PGM_RSRC2:TGID_X_EN: 1
; COMPUTE_PGM_RSRC2:TGID_Y_EN: 0
; COMPUTE_PGM_RSRC2:TGID_Z_EN: 0
; COMPUTE_PGM_RSRC2:TIDIG_COMP_CNT: 0
	.type	__hip_cuid_56ecccaeb2eb77d9,@object ; @__hip_cuid_56ecccaeb2eb77d9
	.section	.bss,"aw",@nobits
	.globl	__hip_cuid_56ecccaeb2eb77d9
__hip_cuid_56ecccaeb2eb77d9:
	.byte	0                               ; 0x0
	.size	__hip_cuid_56ecccaeb2eb77d9, 1

	.ident	"AMD clang version 19.0.0git (https://github.com/RadeonOpenCompute/llvm-project roc-6.4.0 25133 c7fe45cf4b819c5991fe208aaa96edf142730f1d)"
	.section	".note.GNU-stack","",@progbits
	.addrsig
	.addrsig_sym __hip_cuid_56ecccaeb2eb77d9
	.amdgpu_metadata
---
amdhsa.kernels:
  - .args:
      - .actual_access:  read_only
        .address_space:  global
        .offset:         0
        .size:           8
        .value_kind:     global_buffer
      - .actual_access:  read_only
        .address_space:  global
        .offset:         8
        .size:           8
        .value_kind:     global_buffer
      - .actual_access:  read_only
        .address_space:  global
        .offset:         16
        .size:           8
        .value_kind:     global_buffer
      - .actual_access:  read_only
        .address_space:  global
        .offset:         24
        .size:           8
        .value_kind:     global_buffer
      - .actual_access:  read_only
        .address_space:  global
        .offset:         32
        .size:           8
        .value_kind:     global_buffer
      - .offset:         40
        .size:           8
        .value_kind:     by_value
      - .address_space:  global
        .offset:         48
        .size:           8
        .value_kind:     global_buffer
      - .address_space:  global
        .offset:         56
        .size:           8
        .value_kind:     global_buffer
      - .address_space:  global
        .offset:         64
        .size:           8
        .value_kind:     global_buffer
      - .address_space:  global
        .offset:         72
        .size:           8
        .value_kind:     global_buffer
      - .offset:         80
        .size:           4
        .value_kind:     by_value
      - .address_space:  global
        .offset:         88
        .size:           8
        .value_kind:     global_buffer
      - .address_space:  global
        .offset:         96
        .size:           8
        .value_kind:     global_buffer
    .group_segment_fixed_size: 5600
    .kernarg_segment_align: 8
    .kernarg_segment_size: 104
    .language:       OpenCL C
    .language_version:
      - 2
      - 0
    .max_flat_workgroup_size: 50
    .name:           bluestein_single_fwd_len350_dim1_dp_op_CI_CI
    .private_segment_fixed_size: 0
    .sgpr_count:     32
    .sgpr_spill_count: 0
    .symbol:         bluestein_single_fwd_len350_dim1_dp_op_CI_CI.kd
    .uniform_work_group_size: 1
    .uses_dynamic_stack: false
    .vgpr_count:     176
    .vgpr_spill_count: 0
    .wavefront_size: 64
amdhsa.target:   amdgcn-amd-amdhsa--gfx906
amdhsa.version:
  - 1
  - 2
...

	.end_amdgpu_metadata
